;; amdgpu-corpus repo=ROCm/rocFFT kind=compiled arch=gfx950 opt=O3
	.text
	.amdgcn_target "amdgcn-amd-amdhsa--gfx950"
	.amdhsa_code_object_version 6
	.protected	fft_rtc_fwd_len200_factors_10_10_2_wgs_60_tpt_20_halfLds_half_op_CI_CI_unitstride_sbrr_R2C_dirReg ; -- Begin function fft_rtc_fwd_len200_factors_10_10_2_wgs_60_tpt_20_halfLds_half_op_CI_CI_unitstride_sbrr_R2C_dirReg
	.globl	fft_rtc_fwd_len200_factors_10_10_2_wgs_60_tpt_20_halfLds_half_op_CI_CI_unitstride_sbrr_R2C_dirReg
	.p2align	8
	.type	fft_rtc_fwd_len200_factors_10_10_2_wgs_60_tpt_20_halfLds_half_op_CI_CI_unitstride_sbrr_R2C_dirReg,@function
fft_rtc_fwd_len200_factors_10_10_2_wgs_60_tpt_20_halfLds_half_op_CI_CI_unitstride_sbrr_R2C_dirReg: ; @fft_rtc_fwd_len200_factors_10_10_2_wgs_60_tpt_20_halfLds_half_op_CI_CI_unitstride_sbrr_R2C_dirReg
; %bb.0:
	s_load_dwordx4 s[4:7], s[0:1], 0x58
	s_load_dwordx4 s[8:11], s[0:1], 0x0
	;; [unrolled: 1-line block ×3, first 2 shown]
	v_mul_u32_u24_e32 v1, 0xccd, v0
	v_lshrrev_b32_e32 v2, 16, v1
	v_mad_u64_u32 v[6:7], s[2:3], s2, 3, v[2:3]
	v_mov_b32_e32 v8, 0
	v_mov_b32_e32 v7, v8
	s_waitcnt lgkmcnt(0)
	v_cmp_lt_u64_e64 s[2:3], s[10:11], 2
	v_mov_b64_e32 v[16:17], 0
	s_and_b64 vcc, exec, s[2:3]
	v_mov_b64_e32 v[2:3], v[16:17]
	v_mov_b64_e32 v[4:5], v[6:7]
	s_cbranch_vccnz .LBB0_8
; %bb.1:
	s_load_dwordx2 s[2:3], s[0:1], 0x10
	s_add_u32 s16, s14, 8
	s_addc_u32 s17, s15, 0
	s_add_u32 s18, s12, 8
	s_addc_u32 s19, s13, 0
	s_waitcnt lgkmcnt(0)
	s_add_u32 s20, s2, 8
	v_mov_b64_e32 v[16:17], 0
	s_addc_u32 s21, s3, 0
	s_mov_b64 s[22:23], 1
	v_mov_b64_e32 v[2:3], v[16:17]
	v_mov_b64_e32 v[10:11], v[6:7]
.LBB0_2:                                ; =>This Inner Loop Header: Depth=1
	s_load_dwordx2 s[24:25], s[20:21], 0x0
                                        ; implicit-def: $vgpr4_vgpr5
	s_waitcnt lgkmcnt(0)
	v_or_b32_e32 v9, s25, v11
	v_cmp_ne_u64_e32 vcc, 0, v[8:9]
	s_and_saveexec_b64 s[2:3], vcc
	s_xor_b64 s[26:27], exec, s[2:3]
	s_cbranch_execz .LBB0_4
; %bb.3:                                ;   in Loop: Header=BB0_2 Depth=1
	v_cvt_f32_u32_e32 v1, s24
	v_cvt_f32_u32_e32 v4, s25
	s_sub_u32 s2, 0, s24
	s_subb_u32 s3, 0, s25
	v_fmac_f32_e32 v1, 0x4f800000, v4
	v_rcp_f32_e32 v1, v1
	s_nop 0
	v_mul_f32_e32 v1, 0x5f7ffffc, v1
	v_mul_f32_e32 v4, 0x2f800000, v1
	v_trunc_f32_e32 v4, v4
	v_fmac_f32_e32 v1, 0xcf800000, v4
	v_cvt_u32_f32_e32 v7, v4
	v_cvt_u32_f32_e32 v1, v1
	v_mul_lo_u32 v4, s2, v7
	v_mul_hi_u32 v9, s2, v1
	v_mul_lo_u32 v5, s3, v1
	v_add_u32_e32 v9, v9, v4
	v_mul_lo_u32 v14, s2, v1
	v_add_u32_e32 v9, v9, v5
	v_mul_hi_u32 v4, v1, v14
	v_mul_hi_u32 v13, v1, v9
	v_mul_lo_u32 v12, v1, v9
	v_mov_b32_e32 v5, v8
	v_lshl_add_u64 v[4:5], v[4:5], 0, v[12:13]
	v_mul_hi_u32 v13, v7, v14
	v_mul_lo_u32 v14, v7, v14
	v_add_co_u32_e32 v4, vcc, v4, v14
	v_mul_hi_u32 v12, v7, v9
	s_nop 0
	v_addc_co_u32_e32 v4, vcc, v5, v13, vcc
	v_mov_b32_e32 v5, v8
	s_nop 0
	v_addc_co_u32_e32 v13, vcc, 0, v12, vcc
	v_mul_lo_u32 v12, v7, v9
	v_lshl_add_u64 v[4:5], v[4:5], 0, v[12:13]
	v_add_co_u32_e32 v1, vcc, v1, v4
	v_mul_lo_u32 v12, s2, v1
	s_nop 0
	v_addc_co_u32_e32 v7, vcc, v7, v5, vcc
	v_mul_lo_u32 v4, s2, v7
	v_mul_hi_u32 v5, s2, v1
	v_add_u32_e32 v4, v5, v4
	v_mul_lo_u32 v5, s3, v1
	v_add_u32_e32 v9, v4, v5
	v_mul_hi_u32 v15, v7, v12
	v_mul_lo_u32 v18, v7, v12
	v_mul_hi_u32 v5, v1, v9
	v_mul_lo_u32 v4, v1, v9
	v_mul_hi_u32 v12, v1, v12
	v_mov_b32_e32 v13, v8
	v_lshl_add_u64 v[4:5], v[12:13], 0, v[4:5]
	v_add_co_u32_e32 v4, vcc, v4, v18
	v_mul_hi_u32 v14, v7, v9
	s_nop 0
	v_addc_co_u32_e32 v4, vcc, v5, v15, vcc
	v_mul_lo_u32 v12, v7, v9
	s_nop 0
	v_addc_co_u32_e32 v13, vcc, 0, v14, vcc
	v_mov_b32_e32 v5, v8
	v_lshl_add_u64 v[4:5], v[4:5], 0, v[12:13]
	v_add_co_u32_e32 v1, vcc, v1, v4
	v_mul_hi_u32 v12, v10, v1
	s_nop 0
	v_addc_co_u32_e32 v7, vcc, v7, v5, vcc
	v_mad_u64_u32 v[4:5], s[2:3], v10, v7, 0
	v_mov_b32_e32 v13, v8
	v_lshl_add_u64 v[4:5], v[12:13], 0, v[4:5]
	v_mad_u64_u32 v[14:15], s[2:3], v11, v1, 0
	v_add_co_u32_e32 v1, vcc, v4, v14
	v_mad_u64_u32 v[12:13], s[2:3], v11, v7, 0
	s_nop 0
	v_addc_co_u32_e32 v4, vcc, v5, v15, vcc
	v_mov_b32_e32 v5, v8
	s_nop 0
	v_addc_co_u32_e32 v13, vcc, 0, v13, vcc
	v_lshl_add_u64 v[4:5], v[4:5], 0, v[12:13]
	v_mul_lo_u32 v1, s25, v4
	v_mul_lo_u32 v7, s24, v5
	v_mad_u64_u32 v[12:13], s[2:3], s24, v4, 0
	v_add3_u32 v1, v13, v7, v1
	v_sub_u32_e32 v7, v11, v1
	v_mov_b32_e32 v9, s25
	v_sub_co_u32_e32 v18, vcc, v10, v12
	v_lshl_add_u64 v[14:15], v[4:5], 0, 1
	s_nop 0
	v_subb_co_u32_e64 v7, s[2:3], v7, v9, vcc
	v_subrev_co_u32_e64 v9, s[2:3], s24, v18
	v_subb_co_u32_e32 v1, vcc, v11, v1, vcc
	s_nop 0
	v_subbrev_co_u32_e64 v7, s[2:3], 0, v7, s[2:3]
	v_cmp_le_u32_e64 s[2:3], s25, v7
	v_cmp_le_u32_e32 vcc, s25, v1
	s_nop 0
	v_cndmask_b32_e64 v12, 0, -1, s[2:3]
	v_cmp_le_u32_e64 s[2:3], s24, v9
	s_nop 1
	v_cndmask_b32_e64 v9, 0, -1, s[2:3]
	v_cmp_eq_u32_e64 s[2:3], s25, v7
	s_nop 1
	v_cndmask_b32_e64 v7, v12, v9, s[2:3]
	v_lshl_add_u64 v[12:13], v[4:5], 0, 2
	v_cmp_ne_u32_e64 s[2:3], 0, v7
	v_cndmask_b32_e64 v9, 0, -1, vcc
	v_cmp_le_u32_e32 vcc, s24, v18
	v_cndmask_b32_e64 v7, v15, v13, s[2:3]
	s_nop 0
	v_cndmask_b32_e64 v13, 0, -1, vcc
	v_cmp_eq_u32_e32 vcc, s25, v1
	s_nop 1
	v_cndmask_b32_e32 v1, v9, v13, vcc
	v_cmp_ne_u32_e32 vcc, 0, v1
	v_cndmask_b32_e64 v1, v14, v12, s[2:3]
	s_nop 0
	v_cndmask_b32_e32 v5, v5, v7, vcc
	v_cndmask_b32_e32 v4, v4, v1, vcc
.LBB0_4:                                ;   in Loop: Header=BB0_2 Depth=1
	s_andn2_saveexec_b64 s[2:3], s[26:27]
	s_cbranch_execz .LBB0_6
; %bb.5:                                ;   in Loop: Header=BB0_2 Depth=1
	v_cvt_f32_u32_e32 v1, s24
	s_sub_i32 s26, 0, s24
	v_rcp_iflag_f32_e32 v1, v1
	s_nop 0
	v_mul_f32_e32 v1, 0x4f7ffffe, v1
	v_cvt_u32_f32_e32 v1, v1
	v_mul_lo_u32 v4, s26, v1
	v_mul_hi_u32 v4, v1, v4
	v_add_u32_e32 v1, v1, v4
	v_mul_hi_u32 v1, v10, v1
	v_mul_lo_u32 v4, v1, s24
	v_sub_u32_e32 v4, v10, v4
	v_add_u32_e32 v5, 1, v1
	v_subrev_u32_e32 v7, s24, v4
	v_cmp_le_u32_e32 vcc, s24, v4
	s_nop 1
	v_cndmask_b32_e32 v4, v4, v7, vcc
	v_cndmask_b32_e32 v1, v1, v5, vcc
	v_add_u32_e32 v5, 1, v1
	v_cmp_le_u32_e32 vcc, s24, v4
	s_nop 1
	v_cndmask_b32_e32 v4, v1, v5, vcc
	v_mov_b32_e32 v5, v8
.LBB0_6:                                ;   in Loop: Header=BB0_2 Depth=1
	s_or_b64 exec, exec, s[2:3]
	v_mad_u64_u32 v[12:13], s[2:3], v4, s24, 0
	s_load_dwordx2 s[2:3], s[18:19], 0x0
	s_add_u32 s22, s22, 1
	v_mul_lo_u32 v1, v5, s24
	v_mul_lo_u32 v7, v4, s25
	s_load_dwordx2 s[24:25], s[16:17], 0x0
	s_addc_u32 s23, s23, 0
	v_add3_u32 v1, v13, v7, v1
	v_sub_co_u32_e32 v7, vcc, v10, v12
	s_add_u32 s16, s16, 8
	s_nop 0
	v_subb_co_u32_e32 v1, vcc, v11, v1, vcc
	s_addc_u32 s17, s17, 0
	s_waitcnt lgkmcnt(0)
	v_mul_lo_u32 v9, s2, v1
	v_mul_lo_u32 v10, s3, v7
	v_mad_u64_u32 v[16:17], s[2:3], s2, v7, v[16:17]
	s_add_u32 s18, s18, 8
	v_add3_u32 v17, v10, v17, v9
	s_addc_u32 s19, s19, 0
	v_mov_b64_e32 v[10:11], s[10:11]
	v_mul_lo_u32 v1, s24, v1
	v_mul_lo_u32 v9, s25, v7
	v_mad_u64_u32 v[2:3], s[2:3], s24, v7, v[2:3]
	s_add_u32 s20, s20, 8
	v_cmp_ge_u64_e32 vcc, s[22:23], v[10:11]
	v_add3_u32 v3, v9, v3, v1
	s_addc_u32 s21, s21, 0
	s_cbranch_vccnz .LBB0_8
; %bb.7:                                ;   in Loop: Header=BB0_2 Depth=1
	v_mov_b64_e32 v[10:11], v[4:5]
	s_branch .LBB0_2
.LBB0_8:
	s_load_dwordx2 s[0:1], s[0:1], 0x28
	s_lshl_b64 s[10:11], s[10:11], 3
	s_add_u32 s2, s14, s10
	s_mov_b32 s14, 0xaaaaaaab
	v_mul_hi_u32 v1, v6, s14
	v_lshrrev_b32_e32 v1, 1, v1
	v_lshl_add_u32 v1, v1, 1, v1
	s_addc_u32 s3, s15, s11
	v_sub_u32_e32 v1, v6, v1
	s_waitcnt lgkmcnt(0)
	v_cmp_gt_u64_e32 vcc, s[0:1], v[4:5]
	v_cmp_le_u64_e64 s[0:1], s[0:1], v[4:5]
                                        ; implicit-def: $vgpr6
                                        ; implicit-def: $vgpr8
                                        ; implicit-def: $vgpr10
                                        ; implicit-def: $vgpr12
                                        ; implicit-def: $vgpr14
	s_and_saveexec_b64 s[14:15], s[0:1]
	s_xor_b64 s[0:1], exec, s[14:15]
	s_cbranch_execz .LBB0_10
; %bb.9:
	s_mov_b32 s14, 0xccccccd
	v_mul_hi_u32 v6, v0, s14
	v_mul_u32_u24_e32 v6, 20, v6
	v_sub_u32_e32 v6, v0, v6
	v_mov_b32_e32 v7, 0
	v_add_u32_e32 v8, 20, v6
	v_add_u32_e32 v10, 40, v6
	;; [unrolled: 1-line block ×4, first 2 shown]
	v_mov_b32_e32 v9, v7
	v_mov_b32_e32 v11, v7
	;; [unrolled: 1-line block ×4, first 2 shown]
                                        ; implicit-def: $vgpr0
                                        ; implicit-def: $vgpr16_vgpr17
.LBB0_10:
	s_or_saveexec_b64 s[0:1], s[0:1]
	v_mul_u32_u24_e32 v1, 0xc9, v1
	v_lshlrev_b32_e32 v1, 2, v1
	s_xor_b64 exec, exec, s[0:1]
	s_cbranch_execz .LBB0_12
; %bb.11:
	s_add_u32 s10, s12, s10
	s_addc_u32 s11, s13, s11
	s_load_dwordx2 s[10:11], s[10:11], 0x0
	s_mov_b32 s12, 0xccccccd
	s_waitcnt lgkmcnt(0)
	v_mul_lo_u32 v6, s11, v4
	v_mul_lo_u32 v7, s10, v5
	v_mad_u64_u32 v[8:9], s[10:11], s10, v4, 0
	v_add3_u32 v9, v9, v7, v6
	v_mul_hi_u32 v6, v0, s12
	v_mul_u32_u24_e32 v6, 20, v6
	v_sub_u32_e32 v6, v0, v6
	v_mov_b32_e32 v7, 0
	v_lshl_add_u64 v[8:9], v[8:9], 2, s[4:5]
	v_lshl_add_u64 v[8:9], v[16:17], 2, v[8:9]
	v_lshlrev_b32_e32 v16, 2, v6
	v_mov_b32_e32 v17, v7
	v_lshl_add_u64 v[8:9], v[8:9], 0, v[16:17]
	global_load_dword v0, v[8:9], off
	global_load_dword v17, v[8:9], off offset:80
	global_load_dword v18, v[8:9], off offset:160
	;; [unrolled: 1-line block ×9, first 2 shown]
	v_mov_b32_e32 v9, v7
	v_mov_b32_e32 v11, v7
	;; [unrolled: 1-line block ×4, first 2 shown]
	v_add_u32_e32 v8, 20, v6
	v_add_u32_e32 v10, 40, v6
	;; [unrolled: 1-line block ×4, first 2 shown]
	v_add3_u32 v16, 0, v1, v16
	s_waitcnt vmcnt(8)
	ds_write2_b32 v16, v0, v17 offset1:20
	s_waitcnt vmcnt(6)
	ds_write2_b32 v16, v18, v19 offset0:40 offset1:60
	s_waitcnt vmcnt(4)
	ds_write2_b32 v16, v20, v21 offset0:80 offset1:100
	;; [unrolled: 2-line block ×4, first 2 shown]
.LBB0_12:
	s_or_b64 exec, exec, s[0:1]
	v_lshlrev_b32_e32 v18, 2, v6
	v_add_u32_e32 v16, 0, v1
	v_add3_u32 v19, 0, v18, v1
	s_load_dwordx2 s[2:3], s[2:3], 0x0
	s_waitcnt lgkmcnt(0)
	; wave barrier
	s_waitcnt lgkmcnt(0)
	v_add_u32_e32 v17, v16, v18
	ds_read2_b32 v[20:21], v19 offset0:20 offset1:40
	ds_read2_b32 v[22:23], v19 offset0:60 offset1:80
	;; [unrolled: 1-line block ×3, first 2 shown]
	ds_read_b32 v0, v17
	ds_read2_b32 v[26:27], v19 offset0:140 offset1:160
	s_movk_i32 s11, 0x3b9c
	s_mov_b32 s5, 0xbb9c
	s_waitcnt lgkmcnt(2)
	v_add_f16_e32 v30, v23, v25
	s_waitcnt lgkmcnt(1)
	v_fma_f16 v30, v30, -0.5, v0
	s_waitcnt lgkmcnt(0)
	v_sub_f16_sdwa v31, v21, v27 dst_sel:DWORD dst_unused:UNUSED_PAD src0_sel:WORD_1 src1_sel:WORD_1
	v_fma_f16 v32, v31, s11, v30
	v_sub_f16_sdwa v33, v23, v25 dst_sel:DWORD dst_unused:UNUSED_PAD src0_sel:WORD_1 src1_sel:WORD_1
	s_movk_i32 s12, 0x38b4
	v_sub_f16_e32 v34, v27, v25
	v_sub_f16_e32 v35, v21, v23
	v_fma_f16 v30, v31, s5, v30
	s_mov_b32 s4, 0xb8b4
	v_fma_f16 v32, v33, s12, v32
	v_add_f16_e32 v34, v35, v34
	s_movk_i32 s10, 0x34f2
	v_fma_f16 v30, v33, s4, v30
	v_fma_f16 v32, v34, s10, v32
	;; [unrolled: 1-line block ×3, first 2 shown]
	v_add_f16_e32 v34, v21, v27
	v_fma_f16 v34, v34, -0.5, v0
	v_fma_f16 v35, v33, s5, v34
	v_sub_f16_e32 v36, v25, v27
	v_sub_f16_e32 v37, v23, v21
	v_fma_f16 v33, v33, s11, v34
	v_fma_f16 v35, v31, s12, v35
	v_add_f16_e32 v36, v37, v36
	v_fma_f16 v31, v31, s4, v33
	v_pk_add_f16 v33, v0, v21
	v_add_f16_sdwa v34, v23, v25 dst_sel:DWORD dst_unused:UNUSED_PAD src0_sel:WORD_1 src1_sel:WORD_1
	v_lshrrev_b32_e32 v0, 16, v0
	v_fma_f16 v35, v36, s10, v35
	v_fma_f16 v31, v36, s10, v31
	v_fma_f16 v34, v34, -0.5, v0
	v_sub_f16_e32 v36, v21, v27
	v_fma_f16 v37, v36, s5, v34
	v_sub_f16_e32 v38, v23, v25
	v_sub_f16_sdwa v39, v21, v23 dst_sel:DWORD dst_unused:UNUSED_PAD src0_sel:WORD_1 src1_sel:WORD_1
	v_sub_f16_sdwa v40, v27, v25 dst_sel:DWORD dst_unused:UNUSED_PAD src0_sel:WORD_1 src1_sel:WORD_1
	v_fma_f16 v34, v36, s11, v34
	v_fma_f16 v37, v38, s4, v37
	v_add_f16_e32 v39, v39, v40
	v_fma_f16 v34, v38, s12, v34
	ds_read_b32 v29, v19 offset:720
	v_fma_f16 v37, v39, s10, v37
	v_fma_f16 v34, v39, s10, v34
	v_add_f16_sdwa v39, v21, v27 dst_sel:DWORD dst_unused:UNUSED_PAD src0_sel:WORD_1 src1_sel:WORD_1
	v_fma_f16 v0, v39, -0.5, v0
	v_pk_add_f16 v33, v33, v23
	v_fma_f16 v39, v38, s11, v0
	v_sub_f16_sdwa v21, v23, v21 dst_sel:DWORD dst_unused:UNUSED_PAD src0_sel:WORD_1 src1_sel:WORD_1
	v_sub_f16_sdwa v23, v25, v27 dst_sel:DWORD dst_unused:UNUSED_PAD src0_sel:WORD_1 src1_sel:WORD_1
	v_fma_f16 v0, v38, s5, v0
	v_fma_f16 v39, v36, s4, v39
	v_add_f16_e32 v21, v21, v23
	v_fma_f16 v0, v36, s12, v0
	v_fma_f16 v23, v21, s10, v39
	;; [unrolled: 1-line block ×3, first 2 shown]
	v_add_f16_e32 v21, v24, v26
	v_pk_add_f16 v33, v33, v25
	v_fma_f16 v21, v21, -0.5, v20
	s_waitcnt lgkmcnt(0)
	v_sub_f16_sdwa v25, v22, v29 dst_sel:DWORD dst_unused:UNUSED_PAD src0_sel:WORD_1 src1_sel:WORD_1
	v_pk_add_f16 v33, v33, v27
	v_fma_f16 v27, v25, s11, v21
	v_sub_f16_sdwa v36, v24, v26 dst_sel:DWORD dst_unused:UNUSED_PAD src0_sel:WORD_1 src1_sel:WORD_1
	v_sub_f16_e32 v38, v29, v26
	v_sub_f16_e32 v39, v22, v24
	v_fma_f16 v21, v25, s5, v21
	v_fma_f16 v27, v36, s12, v27
	v_add_f16_e32 v38, v39, v38
	v_fma_f16 v21, v36, s4, v21
	v_fma_f16 v27, v38, s10, v27
	;; [unrolled: 1-line block ×3, first 2 shown]
	v_add_f16_e32 v38, v22, v29
	v_fma_f16 v38, v38, -0.5, v20
	v_fma_f16 v39, v36, s5, v38
	v_sub_f16_e32 v40, v26, v29
	v_sub_f16_e32 v41, v24, v22
	v_fma_f16 v36, v36, s11, v38
	v_fma_f16 v39, v25, s12, v39
	v_add_f16_e32 v40, v41, v40
	v_fma_f16 v25, v25, s4, v36
	v_pk_add_f16 v36, v20, v22
	v_add_f16_sdwa v38, v24, v26 dst_sel:DWORD dst_unused:UNUSED_PAD src0_sel:WORD_1 src1_sel:WORD_1
	v_lshrrev_b32_e32 v20, 16, v20
	v_fma_f16 v39, v40, s10, v39
	v_fma_f16 v25, v40, s10, v25
	v_fma_f16 v38, v38, -0.5, v20
	v_sub_f16_e32 v40, v22, v29
	v_fma_f16 v41, v40, s5, v38
	v_sub_f16_e32 v42, v24, v26
	v_sub_f16_sdwa v43, v22, v24 dst_sel:DWORD dst_unused:UNUSED_PAD src0_sel:WORD_1 src1_sel:WORD_1
	v_sub_f16_sdwa v44, v29, v26 dst_sel:DWORD dst_unused:UNUSED_PAD src0_sel:WORD_1 src1_sel:WORD_1
	v_fma_f16 v38, v40, s11, v38
	v_fma_f16 v41, v42, s4, v41
	v_add_f16_e32 v43, v43, v44
	v_fma_f16 v38, v42, s12, v38
	v_fma_f16 v41, v43, s10, v41
	;; [unrolled: 1-line block ×3, first 2 shown]
	v_add_f16_sdwa v43, v22, v29 dst_sel:DWORD dst_unused:UNUSED_PAD src0_sel:WORD_1 src1_sel:WORD_1
	v_fma_f16 v20, v43, -0.5, v20
	v_pk_add_f16 v36, v36, v24
	v_fma_f16 v43, v42, s11, v20
	v_sub_f16_sdwa v22, v24, v22 dst_sel:DWORD dst_unused:UNUSED_PAD src0_sel:WORD_1 src1_sel:WORD_1
	v_sub_f16_sdwa v24, v26, v29 dst_sel:DWORD dst_unused:UNUSED_PAD src0_sel:WORD_1 src1_sel:WORD_1
	v_fma_f16 v43, v40, s4, v43
	v_add_f16_e32 v22, v22, v24
	v_fma_f16 v20, v42, s5, v20
	v_pk_add_f16 v36, v36, v26
	v_fma_f16 v24, v22, s10, v43
	v_fma_f16 v20, v40, s12, v20
	v_pk_add_f16 v36, v36, v29
	v_fma_f16 v20, v22, s10, v20
	s_movk_i32 s13, 0x3a79
	v_mul_f16_e32 v22, 0x3a79, v27
	v_mul_f16_e32 v29, 0x3b9c, v24
	;; [unrolled: 1-line block ×5, first 2 shown]
	v_fma_f16 v22, v41, s12, v22
	v_fma_f16 v29, v39, s10, v29
	v_fma_f16 v42, v20, s11, -v42
	v_fma_f16 v44, v38, s12, -v44
	v_fma_f16 v27, v41, s13, v27
	v_mul_f16_e32 v39, 0xbb9c, v39
	v_mul_f16_e32 v20, 0x34f2, v20
	;; [unrolled: 1-line block ×3, first 2 shown]
	v_add_f16_e32 v26, v32, v22
	v_add_f16_e32 v41, v37, v27
	v_fma_f16 v24, v24, s10, v39
	v_fma_f16 v20, v25, s5, -v20
	v_fma_f16 v21, v21, s4, -v38
	v_mad_u32_u24 v28, v6, 36, v19
	v_add_f16_e32 v40, v35, v29
	v_add_f16_e32 v43, v31, v42
	;; [unrolled: 1-line block ×3, first 2 shown]
	v_pk_add_f16 v46, v33, v36
	v_add_f16_e32 v39, v23, v24
	v_add_f16_e32 v25, v0, v20
	;; [unrolled: 1-line block ×3, first 2 shown]
	v_sub_f16_e32 v31, v31, v42
	v_sub_f16_e32 v30, v30, v44
	;; [unrolled: 1-line block ×4, first 2 shown]
	v_pack_b32_f16 v21, v26, v41
	v_sub_f16_e32 v23, v23, v24
	s_waitcnt lgkmcnt(0)
	; wave barrier
	ds_write2_b32 v28, v46, v21 offset1:1
	v_pack_b32_f16 v21, v43, v25
	v_pack_b32_f16 v24, v40, v39
	;; [unrolled: 1-line block ×4, first 2 shown]
	v_sub_f16_e32 v22, v32, v22
	v_sub_f16_e32 v29, v35, v29
	v_sub_f16_e32 v27, v37, v27
	ds_write2_b32 v28, v24, v21 offset0:2 offset1:3
	v_pk_add_f16 v21, v33, v36 neg_lo:[0,1] neg_hi:[0,1]
	v_pack_b32_f16 v24, v45, v38
	ds_write2_b32 v28, v0, v20 offset0:8 offset1:9
	v_add_u32_e32 v0, -10, v6
	v_cmp_gt_u32_e64 s[0:1], 10, v6
	ds_write2_b32 v28, v24, v21 offset0:4 offset1:5
	v_pack_b32_f16 v21, v22, v27
	v_pack_b32_f16 v22, v29, v23
	v_cndmask_b32_e64 v0, v0, v6, s[0:1]
	ds_write2_b32 v28, v21, v22 offset0:6 offset1:7
	v_mul_i32_i24_e32 v20, 9, v0
	v_mov_b32_e32 v21, 0
	v_lshl_add_u64 v[20:21], v[20:21], 2, s[8:9]
	s_waitcnt lgkmcnt(0)
	; wave barrier
	s_waitcnt lgkmcnt(0)
	global_load_dwordx4 v[24:27], v[20:21], off
	global_load_dwordx4 v[28:31], v[20:21], off offset:16
	global_load_dword v36, v[20:21], off offset:32
	v_lshl_add_u32 v22, v10, 2, v16
	ds_read_b32 v37, v17
	v_lshl_add_u32 v23, v8, 2, v16
	v_lshl_add_u32 v21, v12, 2, v16
	;; [unrolled: 1-line block ×3, first 2 shown]
	ds_read_b32 v38, v22
	ds_read_b32 v39, v21
	;; [unrolled: 1-line block ×3, first 2 shown]
	ds_read2_b32 v[32:33], v19 offset0:100 offset1:120
	ds_read2_b32 v[34:35], v19 offset0:140 offset1:160
	ds_read_b32 v41, v23
	ds_read_b32 v42, v19 offset:720
	s_waitcnt lgkmcnt(7)
	v_lshrrev_b32_e32 v43, 16, v37
	s_waitcnt lgkmcnt(3)
	v_lshrrev_b32_e32 v44, 16, v33
	;; [unrolled: 2-line block ×4, first 2 shown]
	v_lshrrev_b32_e32 v46, 16, v35
	s_waitcnt lgkmcnt(0)
	v_lshrrev_b32_e32 v47, 16, v42
	v_cmp_lt_u32_e64 s[0:1], 9, v6
	v_lshlrev_b32_e32 v0, 2, v0
	s_waitcnt lgkmcnt(0)
	; wave barrier
	v_lshl_add_u64 v[12:13], v[12:13], 2, s[8:9]
	v_lshl_add_u64 v[10:11], v[10:11], 2, s[8:9]
	;; [unrolled: 1-line block ×3, first 2 shown]
	s_waitcnt vmcnt(2)
	v_mul_f16_sdwa v49, v24, v48 dst_sel:DWORD dst_unused:UNUSED_PAD src0_sel:WORD_1 src1_sel:DWORD
	v_fma_f16 v49, v24, v41, -v49
	v_mul_f16_sdwa v41, v24, v41 dst_sel:DWORD dst_unused:UNUSED_PAD src0_sel:WORD_1 src1_sel:DWORD
	v_fma_f16 v24, v24, v48, v41
	v_lshrrev_b32_e32 v41, 16, v38
	v_mul_f16_sdwa v48, v25, v41 dst_sel:DWORD dst_unused:UNUSED_PAD src0_sel:WORD_1 src1_sel:DWORD
	v_fma_f16 v48, v25, v38, -v48
	v_mul_f16_sdwa v38, v25, v38 dst_sel:DWORD dst_unused:UNUSED_PAD src0_sel:WORD_1 src1_sel:DWORD
	v_fma_f16 v25, v25, v41, v38
	v_lshrrev_b32_e32 v38, 16, v39
	;; [unrolled: 5-line block ×4, first 2 shown]
	s_waitcnt vmcnt(1)
	v_mul_f16_sdwa v40, v28, v38 dst_sel:DWORD dst_unused:UNUSED_PAD src0_sel:WORD_1 src1_sel:DWORD
	v_fma_f16 v40, v28, v32, -v40
	v_mul_f16_sdwa v32, v28, v32 dst_sel:DWORD dst_unused:UNUSED_PAD src0_sel:WORD_1 src1_sel:DWORD
	v_fma_f16 v28, v28, v38, v32
	v_mul_f16_sdwa v32, v44, v29 dst_sel:DWORD dst_unused:UNUSED_PAD src0_sel:DWORD src1_sel:WORD_1
	v_fma_f16 v32, v33, v29, -v32
	v_mul_f16_sdwa v33, v33, v29 dst_sel:DWORD dst_unused:UNUSED_PAD src0_sel:DWORD src1_sel:WORD_1
	v_fma_f16 v29, v44, v29, v33
	v_mul_f16_sdwa v33, v45, v30 dst_sel:DWORD dst_unused:UNUSED_PAD src0_sel:DWORD src1_sel:WORD_1
	v_fma_f16 v33, v34, v30, -v33
	v_mul_f16_sdwa v34, v34, v30 dst_sel:DWORD dst_unused:UNUSED_PAD src0_sel:DWORD src1_sel:WORD_1
	;; [unrolled: 4-line block ×3, first 2 shown]
	v_fma_f16 v31, v46, v31, v35
	s_waitcnt vmcnt(0)
	v_mul_f16_sdwa v35, v47, v36 dst_sel:DWORD dst_unused:UNUSED_PAD src0_sel:DWORD src1_sel:WORD_1
	v_fma_f16 v35, v42, v36, -v35
	v_mul_f16_sdwa v38, v42, v36 dst_sel:DWORD dst_unused:UNUSED_PAD src0_sel:DWORD src1_sel:WORD_1
	v_add_f16_e32 v42, v39, v32
	v_fma_f16 v42, v42, -0.5, v37
	v_sub_f16_e32 v44, v25, v31
	v_fma_f16 v36, v47, v36, v38
	v_fma_f16 v45, v44, s11, v42
	v_sub_f16_e32 v46, v27, v29
	v_sub_f16_e32 v47, v48, v39
	;; [unrolled: 1-line block ×3, first 2 shown]
	v_fma_f16 v42, v44, s5, v42
	v_fma_f16 v45, v46, s12, v45
	v_add_f16_e32 v47, v47, v50
	v_fma_f16 v42, v46, s4, v42
	v_add_f16_e32 v38, v37, v48
	v_fma_f16 v45, v47, s10, v45
	v_fma_f16 v42, v47, s10, v42
	v_add_f16_e32 v47, v48, v34
	v_add_f16_e32 v38, v38, v39
	v_fma_f16 v37, v47, -0.5, v37
	v_add_f16_e32 v38, v38, v32
	v_fma_f16 v47, v46, s5, v37
	v_fma_f16 v37, v46, s11, v37
	v_add_f16_e32 v46, v27, v29
	v_add_f16_e32 v38, v38, v34
	v_sub_f16_e32 v50, v39, v48
	v_sub_f16_e32 v51, v32, v34
	v_fma_f16 v46, v46, -0.5, v43
	v_sub_f16_e32 v34, v48, v34
	v_fma_f16 v47, v44, s12, v47
	v_add_f16_e32 v50, v50, v51
	v_fma_f16 v37, v44, s4, v37
	v_fma_f16 v48, v34, s5, v46
	v_sub_f16_e32 v32, v39, v32
	v_fma_f16 v47, v50, s10, v47
	v_fma_f16 v37, v50, s10, v37
	;; [unrolled: 1-line block ×3, first 2 shown]
	v_sub_f16_e32 v48, v25, v27
	v_sub_f16_e32 v50, v31, v29
	v_fma_f16 v46, v34, s11, v46
	v_add_f16_e32 v44, v43, v25
	v_add_f16_e32 v48, v48, v50
	v_fma_f16 v46, v32, s12, v46
	v_add_f16_e32 v44, v44, v27
	v_fma_f16 v39, v48, s10, v39
	v_fma_f16 v46, v48, s10, v46
	v_add_f16_e32 v48, v25, v31
	v_add_f16_e32 v44, v44, v29
	v_fma_f16 v43, v48, -0.5, v43
	v_add_f16_e32 v44, v44, v31
	v_fma_f16 v48, v32, s11, v43
	v_sub_f16_e32 v25, v27, v25
	v_sub_f16_e32 v27, v29, v31
	v_add_f16_e32 v31, v40, v33
	v_fma_f16 v48, v34, s4, v48
	v_add_f16_e32 v25, v25, v27
	v_fma_f16 v29, v32, s5, v43
	v_fma_f16 v31, v31, -0.5, v49
	v_sub_f16_e32 v32, v26, v36
	v_fma_f16 v27, v25, s10, v48
	v_fma_f16 v29, v34, s12, v29
	;; [unrolled: 1-line block ×3, first 2 shown]
	v_sub_f16_e32 v43, v28, v30
	v_sub_f16_e32 v48, v41, v40
	;; [unrolled: 1-line block ×3, first 2 shown]
	v_fma_f16 v31, v32, s5, v31
	v_fma_f16 v34, v43, s12, v34
	v_add_f16_e32 v48, v48, v50
	v_fma_f16 v31, v43, s4, v31
	v_fma_f16 v25, v25, s10, v29
	v_add_f16_e32 v29, v49, v41
	;; [unrolled: 3-line block ×3, first 2 shown]
	v_add_f16_e32 v29, v29, v40
	v_fma_f16 v48, v48, -0.5, v49
	v_add_f16_e32 v29, v29, v33
	v_fma_f16 v49, v43, s5, v48
	v_fma_f16 v43, v43, s11, v48
	v_add_f16_e32 v48, v28, v30
	v_add_f16_e32 v29, v29, v35
	v_sub_f16_e32 v50, v40, v41
	v_sub_f16_e32 v51, v33, v35
	v_fma_f16 v48, v48, -0.5, v24
	v_sub_f16_e32 v35, v41, v35
	v_fma_f16 v49, v32, s12, v49
	v_add_f16_e32 v50, v50, v51
	v_fma_f16 v32, v32, s4, v43
	v_fma_f16 v41, v35, s5, v48
	v_sub_f16_e32 v33, v40, v33
	v_fma_f16 v49, v50, s10, v49
	v_fma_f16 v32, v50, s10, v32
	v_fma_f16 v40, v33, s4, v41
	v_sub_f16_e32 v41, v26, v28
	v_sub_f16_e32 v50, v36, v30
	v_fma_f16 v48, v35, s11, v48
	v_add_f16_e32 v41, v41, v50
	v_fma_f16 v48, v33, s12, v48
	v_fma_f16 v40, v41, s10, v40
	;; [unrolled: 1-line block ×3, first 2 shown]
	v_add_f16_e32 v48, v26, v36
	v_add_f16_e32 v43, v24, v26
	v_fma_f16 v24, v48, -0.5, v24
	v_add_f16_e32 v43, v43, v28
	v_fma_f16 v48, v33, s11, v24
	v_sub_f16_e32 v26, v28, v26
	v_sub_f16_e32 v28, v30, v36
	v_fma_f16 v48, v35, s4, v48
	v_add_f16_e32 v26, v26, v28
	v_fma_f16 v28, v26, s10, v48
	v_fma_f16 v24, v33, s5, v24
	;; [unrolled: 1-line block ×3, first 2 shown]
	v_mul_f16_e32 v35, 0x3b9c, v28
	v_fma_f16 v35, v49, s10, v35
	v_mul_f16_e32 v49, 0xbb9c, v49
	v_add_f16_e32 v43, v43, v30
	v_mul_f16_e32 v30, 0x38b4, v40
	v_fma_f16 v28, v28, s10, v49
	v_fma_f16 v24, v26, s10, v24
	;; [unrolled: 1-line block ×3, first 2 shown]
	v_mul_f16_e32 v48, 0x34f2, v32
	v_mul_f16_e32 v34, 0xb8b4, v34
	v_add_f16_e32 v49, v27, v28
	v_sub_f16_e32 v27, v27, v28
	v_mov_b32_e32 v28, 0x190
	v_add_f16_e32 v43, v43, v36
	v_fma_f16 v48, v24, s11, -v48
	v_mul_f16_e32 v51, 0x3a79, v31
	v_fma_f16 v34, v40, s13, v34
	v_mul_f16_e32 v24, 0x34f2, v24
	v_cndmask_b32_e64 v28, 0, v28, s[0:1]
	v_add_f16_e32 v26, v38, v29
	v_add_f16_e32 v33, v45, v30
	v_fma_f16 v51, v41, s12, -v51
	v_add_f16_e32 v53, v44, v43
	v_add_f16_e32 v40, v39, v34
	v_fma_f16 v24, v32, s5, -v24
	v_mul_f16_e32 v41, 0x3a79, v41
	v_add_u32_e32 v28, 0, v28
	v_add_f16_e32 v36, v47, v35
	v_add_f16_e32 v50, v37, v48
	;; [unrolled: 1-line block ×3, first 2 shown]
	v_fma_f16 v31, v31, s4, -v41
	v_add3_u32 v0, v28, v0, v1
	v_pack_b32_f16 v1, v26, v53
	v_pack_b32_f16 v26, v33, v40
	v_add_f16_e32 v52, v42, v51
	v_add_f16_e32 v41, v46, v31
	v_sub_f16_e32 v29, v38, v29
	v_sub_f16_e32 v38, v42, v51
	;; [unrolled: 1-line block ×3, first 2 shown]
	ds_write2_b32 v0, v1, v26 offset1:10
	v_pack_b32_f16 v1, v36, v49
	v_pack_b32_f16 v26, v50, v32
	v_sub_f16_e32 v30, v45, v30
	v_sub_f16_e32 v35, v47, v35
	;; [unrolled: 1-line block ×3, first 2 shown]
	ds_write2_b32 v0, v1, v26 offset0:20 offset1:30
	v_pack_b32_f16 v1, v52, v41
	v_pack_b32_f16 v26, v29, v42
	v_sub_f16_e32 v37, v37, v48
	v_sub_f16_e32 v24, v25, v24
	;; [unrolled: 1-line block ×3, first 2 shown]
	ds_write2_b32 v0, v1, v26 offset0:40 offset1:50
	v_pack_b32_f16 v1, v30, v34
	v_pack_b32_f16 v26, v35, v27
	ds_write2_b32 v0, v1, v26 offset0:60 offset1:70
	v_pack_b32_f16 v1, v37, v24
	v_pack_b32_f16 v24, v38, v25
	ds_write2_b32 v0, v1, v24 offset0:80 offset1:90
	v_lshl_add_u64 v[0:1], v[14:15], 2, s[8:9]
	s_waitcnt lgkmcnt(0)
	; wave barrier
	s_waitcnt lgkmcnt(0)
	global_load_dword v28, v[0:1], off offset:360
	global_load_dword v31, v[8:9], off offset:360
	global_load_dword v29, v[12:13], off offset:360
	v_lshl_add_u64 v[14:15], v[6:7], 2, s[8:9]
	global_load_dword v7, v[14:15], off offset:360
	global_load_dword v30, v[10:11], off offset:360
	ds_read_b32 v32, v22
	ds_read_b32 v33, v21
	;; [unrolled: 1-line block ×3, first 2 shown]
	ds_read_b32 v35, v19 offset:720
	ds_read_b32 v36, v23
	ds_read_b32 v37, v17
	ds_read2_b32 v[24:25], v19 offset0:100 offset1:120
	ds_read2_b32 v[26:27], v19 offset0:140 offset1:160
	s_mov_b32 s4, 0xffff
	s_waitcnt lgkmcnt(0)
	; wave barrier
	s_waitcnt lgkmcnt(0)
	v_cmp_ne_u32_e64 s[0:1], 0, v6
	s_waitcnt vmcnt(4)
	v_pk_mul_f16 v38, v28, v35 op_sel:[0,1]
	s_nop 0
	v_pk_fma_f16 v39, v28, v35, v38 op_sel:[0,0,1] op_sel_hi:[1,1,0] neg_lo:[0,0,1] neg_hi:[0,0,1]
	v_pk_fma_f16 v28, v28, v35, v38 op_sel:[0,0,1] op_sel_hi:[1,0,0]
	s_waitcnt vmcnt(2)
	v_pk_mul_f16 v35, v29, v27 op_sel:[0,1]
	v_bfi_b32 v28, s4, v39, v28
	v_pk_fma_f16 v38, v29, v27, v35 op_sel:[0,0,1] op_sel_hi:[1,1,0] neg_lo:[0,0,1] neg_hi:[0,0,1]
	v_pk_fma_f16 v27, v29, v27, v35 op_sel:[0,0,1] op_sel_hi:[1,0,0]
	v_pk_add_f16 v28, v34, v28 neg_lo:[0,1] neg_hi:[0,1]
	v_bfi_b32 v27, s4, v38, v27
	v_pk_add_f16 v27, v33, v27 neg_lo:[0,1] neg_hi:[0,1]
	v_pk_fma_f16 v34, v34, 2.0, v28 op_sel_hi:[1,0,1] neg_lo:[0,0,1] neg_hi:[0,0,1]
	v_pk_fma_f16 v29, v33, 2.0, v27 op_sel_hi:[1,0,1] neg_lo:[0,0,1] neg_hi:[0,0,1]
	s_waitcnt vmcnt(0)
	v_pk_mul_f16 v33, v30, v26 op_sel:[0,1]
	s_nop 0
	v_pk_fma_f16 v35, v30, v26, v33 op_sel:[0,0,1] op_sel_hi:[1,1,0] neg_lo:[0,0,1] neg_hi:[0,0,1]
	v_pk_fma_f16 v26, v30, v26, v33 op_sel:[0,0,1] op_sel_hi:[1,0,0]
	s_nop 0
	v_bfi_b32 v26, s4, v35, v26
	v_pk_add_f16 v26, v32, v26 neg_lo:[0,1] neg_hi:[0,1]
	s_nop 0
	v_pk_fma_f16 v30, v32, 2.0, v26 op_sel_hi:[1,0,1] neg_lo:[0,0,1] neg_hi:[0,0,1]
	v_pk_mul_f16 v32, v31, v25 op_sel:[0,1]
	s_nop 0
	v_pk_fma_f16 v33, v31, v25, v32 op_sel:[0,0,1] op_sel_hi:[1,1,0] neg_lo:[0,0,1] neg_hi:[0,0,1]
	v_pk_fma_f16 v25, v31, v25, v32 op_sel:[0,0,1] op_sel_hi:[1,0,0]
	v_pk_mul_f16 v32, v7, v24 op_sel:[0,1]
	v_bfi_b32 v25, s4, v33, v25
	v_pk_fma_f16 v33, v7, v24, v32 op_sel:[0,0,1] op_sel_hi:[1,1,0] neg_lo:[0,0,1] neg_hi:[0,0,1]
	v_pk_fma_f16 v7, v7, v24, v32 op_sel:[0,0,1] op_sel_hi:[1,0,0]
	v_pk_add_f16 v25, v36, v25 neg_lo:[0,1] neg_hi:[0,1]
	v_bfi_b32 v7, s4, v33, v7
	v_pk_add_f16 v7, v37, v7 neg_lo:[0,1] neg_hi:[0,1]
	v_pk_fma_f16 v31, v36, 2.0, v25 op_sel_hi:[1,0,1] neg_lo:[0,0,1] neg_hi:[0,0,1]
	v_pk_fma_f16 v24, v37, 2.0, v7 op_sel_hi:[1,0,1] neg_lo:[0,0,1] neg_hi:[0,0,1]
	ds_write2_b32 v19, v24, v7 offset1:100
	ds_write2_b32 v23, v31, v25 offset1:100
	;; [unrolled: 1-line block ×5, first 2 shown]
	s_waitcnt lgkmcnt(0)
	; wave barrier
	s_waitcnt lgkmcnt(0)
	ds_read_b32 v25, v17
	v_sub_u32_e32 v7, v16, v18
                                        ; implicit-def: $vgpr19
                                        ; implicit-def: $vgpr18
                                        ; implicit-def: $vgpr24
	s_and_saveexec_b64 s[8:9], s[0:1]
	s_xor_b64 s[0:1], exec, s[8:9]
	s_cbranch_execz .LBB0_14
; %bb.13:
	global_load_dword v14, v[14:15], off offset:760
	ds_read_b32 v15, v7 offset:800
	s_waitcnt lgkmcnt(0)
	v_pk_add_f16 v18, v25, v15 neg_lo:[0,1] neg_hi:[0,1]
	v_pk_add_f16 v15, v15, v25
                                        ; implicit-def: $vgpr25
	s_nop 0
	v_bfi_b32 v19, s4, v18, v15
	v_bfi_b32 v15, s4, v15, v18
	v_pk_mul_f16 v18, v19, 0.5 op_sel_hi:[1,0]
	v_pk_mul_f16 v19, v15, 0.5 op_sel_hi:[1,0]
	s_waitcnt vmcnt(0)
	v_pk_mul_f16 v24, v14, v18 op_sel:[1,0]
	v_pk_mul_f16 v14, v14, v18 op_sel_hi:[0,1]
	v_pk_fma_f16 v15, v15, 0.5, v24 op_sel_hi:[1,0,1]
	v_sub_f16_e32 v18, v19, v24
	v_sub_f16_sdwa v24, v24, v19 dst_sel:DWORD dst_unused:UNUSED_PAD src0_sel:WORD_1 src1_sel:WORD_1
	v_pk_add_f16 v19, v15, v14 op_sel:[0,1] op_sel_hi:[1,0]
	v_pk_add_f16 v15, v15, v14 op_sel:[0,1] op_sel_hi:[1,0] neg_lo:[0,1] neg_hi:[0,1]
	v_sub_f16_sdwa v18, v18, v14 dst_sel:DWORD dst_unused:UNUSED_PAD src0_sel:DWORD src1_sel:WORD_1
	v_bfi_b32 v19, s4, v19, v15
	v_sub_f16_e32 v24, v24, v14
.LBB0_14:
	s_andn2_saveexec_b64 s[0:1], s[0:1]
	s_cbranch_execz .LBB0_16
; %bb.15:
	ds_read_u16 v14, v16 offset:402
	s_waitcnt lgkmcnt(1)
	v_alignbit_b32 v15, s0, v25, 16
	v_pk_add_f16 v15, v15, v25
	v_sub_f16_sdwa v18, v25, v25 dst_sel:DWORD dst_unused:UNUSED_PAD src0_sel:DWORD src1_sel:WORD_1
	v_pack_b32_f16 v19, v15, 0
	s_waitcnt lgkmcnt(0)
	v_xor_b32_e32 v14, 0x8000, v14
	v_mov_b32_e32 v24, 0
	ds_write_b16 v16, v14 offset:402
.LBB0_16:
	s_or_b64 exec, exec, s[0:1]
	global_load_dword v14, v[8:9], off offset:760
	global_load_dword v15, v[10:11], off offset:760
	s_waitcnt lgkmcnt(0)
	global_load_dword v25, v[12:13], off offset:760
	ds_write_b16 v7, v24 offset:802
	ds_write_b32 v17, v19
	ds_write_b16 v7, v18 offset:800
	ds_read_b32 v8, v23
	ds_read_b32 v9, v7 offset:720
	global_load_dword v0, v[0:1], off offset:760
	s_mov_b32 s0, 0xffff
	s_waitcnt lgkmcnt(0)
	v_pk_add_f16 v1, v8, v9 neg_lo:[0,1] neg_hi:[0,1]
	v_pk_add_f16 v8, v8, v9
	s_nop 0
	v_bfi_b32 v9, s0, v1, v8
	v_bfi_b32 v1, s0, v8, v1
	v_pk_mul_f16 v8, v9, 0.5 op_sel_hi:[1,0]
	v_pk_mul_f16 v1, v1, 0.5 op_sel_hi:[1,0]
	s_waitcnt vmcnt(3)
	v_pk_mul_f16 v10, v14, v8 op_sel_hi:[0,1]
	v_pk_fma_f16 v9, v14, v8, v1 op_sel:[1,0,0]
	v_pk_fma_f16 v11, v14, v8, v1 op_sel:[1,0,0] neg_lo:[1,0,0] neg_hi:[1,0,0]
	v_pk_fma_f16 v1, v14, v8, v1 op_sel:[1,0,0] neg_lo:[0,0,1] neg_hi:[0,0,1]
	v_pk_add_f16 v8, v9, v10 op_sel:[0,1] op_sel_hi:[1,0]
	v_pk_add_f16 v9, v9, v10 op_sel:[0,1] op_sel_hi:[1,0] neg_lo:[0,1] neg_hi:[0,1]
	v_pk_add_f16 v11, v11, v10 op_sel:[0,1] op_sel_hi:[1,0] neg_lo:[0,1] neg_hi:[0,1]
	v_pk_add_f16 v1, v1, v10 op_sel:[0,1] op_sel_hi:[1,0] neg_lo:[0,1] neg_hi:[0,1]
	v_bfi_b32 v8, s0, v8, v9
	v_bfi_b32 v1, s0, v11, v1
	ds_write_b32 v23, v8
	ds_write_b32 v7, v1 offset:720
	ds_read_b32 v1, v22
	ds_read_b32 v8, v7 offset:640
	s_waitcnt lgkmcnt(0)
	v_pk_add_f16 v9, v1, v8 neg_lo:[0,1] neg_hi:[0,1]
	v_pk_add_f16 v1, v1, v8
	s_nop 0
	v_bfi_b32 v8, s0, v9, v1
	v_bfi_b32 v1, s0, v1, v9
	v_pk_mul_f16 v8, v8, 0.5 op_sel_hi:[1,0]
	v_pk_mul_f16 v1, v1, 0.5 op_sel_hi:[1,0]
	s_waitcnt vmcnt(2)
	v_pk_mul_f16 v10, v15, v8 op_sel_hi:[0,1]
	v_pk_fma_f16 v9, v15, v8, v1 op_sel:[1,0,0]
	v_pk_fma_f16 v11, v15, v8, v1 op_sel:[1,0,0] neg_lo:[1,0,0] neg_hi:[1,0,0]
	v_pk_fma_f16 v1, v15, v8, v1 op_sel:[1,0,0] neg_lo:[0,0,1] neg_hi:[0,0,1]
	v_pk_add_f16 v8, v9, v10 op_sel:[0,1] op_sel_hi:[1,0]
	v_pk_add_f16 v9, v9, v10 op_sel:[0,1] op_sel_hi:[1,0] neg_lo:[0,1] neg_hi:[0,1]
	v_pk_add_f16 v11, v11, v10 op_sel:[0,1] op_sel_hi:[1,0] neg_lo:[0,1] neg_hi:[0,1]
	v_pk_add_f16 v1, v1, v10 op_sel:[0,1] op_sel_hi:[1,0] neg_lo:[0,1] neg_hi:[0,1]
	v_bfi_b32 v8, s0, v8, v9
	v_bfi_b32 v1, s0, v11, v1
	ds_write_b32 v22, v8
	ds_write_b32 v7, v1 offset:640
	ds_read_b32 v1, v21
	ds_read_b32 v8, v7 offset:560
	;; [unrolled: 23-line block ×3, first 2 shown]
	s_waitcnt lgkmcnt(0)
	v_pk_add_f16 v9, v1, v8 neg_lo:[0,1] neg_hi:[0,1]
	v_pk_add_f16 v1, v1, v8
	s_nop 0
	v_bfi_b32 v8, s0, v9, v1
	v_bfi_b32 v1, s0, v1, v9
	v_pk_mul_f16 v8, v8, 0.5 op_sel_hi:[1,0]
	v_pk_mul_f16 v1, v1, 0.5 op_sel_hi:[1,0]
	s_waitcnt vmcnt(0)
	v_pk_mul_f16 v10, v0, v8 op_sel_hi:[0,1]
	v_pk_fma_f16 v9, v0, v8, v1 op_sel:[1,0,0]
	v_pk_fma_f16 v11, v0, v8, v1 op_sel:[1,0,0] neg_lo:[1,0,0] neg_hi:[1,0,0]
	v_pk_fma_f16 v0, v0, v8, v1 op_sel:[1,0,0] neg_lo:[0,0,1] neg_hi:[0,0,1]
	v_pk_add_f16 v1, v9, v10 op_sel:[0,1] op_sel_hi:[1,0]
	v_pk_add_f16 v8, v9, v10 op_sel:[0,1] op_sel_hi:[1,0] neg_lo:[0,1] neg_hi:[0,1]
	v_pk_add_f16 v9, v11, v10 op_sel:[0,1] op_sel_hi:[1,0] neg_lo:[0,1] neg_hi:[0,1]
	v_pk_add_f16 v0, v0, v10 op_sel:[0,1] op_sel_hi:[1,0] neg_lo:[0,1] neg_hi:[0,1]
	v_bfi_b32 v1, s0, v1, v8
	v_bfi_b32 v0, s0, v9, v0
	ds_write_b32 v20, v1
	ds_write_b32 v7, v0 offset:480
	s_waitcnt lgkmcnt(0)
	; wave barrier
	s_waitcnt lgkmcnt(0)
	s_and_saveexec_b64 s[0:1], vcc
	s_cbranch_execz .LBB0_19
; %bb.17:
	v_mul_lo_u32 v7, s3, v4
	v_mad_u64_u32 v[0:1], s[0:1], s2, v4, 0
	v_lshl_add_u32 v4, v6, 2, v16
	v_mul_lo_u32 v5, s2, v5
	ds_read2_b32 v[8:9], v4 offset1:20
	v_add3_u32 v1, v1, v5, v7
	v_lshl_add_u64 v[0:1], v[0:1], 2, s[6:7]
	v_mov_b32_e32 v7, 0
	v_lshl_add_u64 v[0:1], v[2:3], 2, v[0:1]
	v_lshl_add_u64 v[2:3], v[6:7], 2, v[0:1]
	ds_read2_b32 v[10:11], v4 offset0:40 offset1:60
	s_waitcnt lgkmcnt(1)
	global_store_dword v[2:3], v8, off
	v_add_u32_e32 v2, 20, v6
	v_mov_b32_e32 v3, v7
	v_lshl_add_u64 v[2:3], v[2:3], 2, v[0:1]
	global_store_dword v[2:3], v9, off
	v_add_u32_e32 v2, 40, v6
	v_mov_b32_e32 v3, v7
	v_lshl_add_u64 v[2:3], v[2:3], 2, v[0:1]
	ds_read2_b32 v[8:9], v4 offset0:80 offset1:100
	s_waitcnt lgkmcnt(1)
	global_store_dword v[2:3], v10, off
	v_add_u32_e32 v2, 60, v6
	v_mov_b32_e32 v3, v7
	v_lshl_add_u64 v[2:3], v[2:3], 2, v[0:1]
	global_store_dword v[2:3], v11, off
	v_add_u32_e32 v2, 0x50, v6
	v_mov_b32_e32 v3, v7
	;; [unrolled: 10-line block ×4, first 2 shown]
	v_lshl_add_u64 v[2:3], v[2:3], 2, v[0:1]
	s_waitcnt lgkmcnt(0)
	global_store_dword v[2:3], v8, off
	v_add_u32_e32 v2, 0xb4, v6
	v_mov_b32_e32 v3, v7
	v_lshl_add_u64 v[2:3], v[2:3], 2, v[0:1]
	v_cmp_eq_u32_e32 vcc, 19, v6
	global_store_dword v[2:3], v9, off
	s_and_b64 exec, exec, vcc
	s_cbranch_execz .LBB0_19
; %bb.18:
	ds_read_b32 v2, v4 offset:724
	s_waitcnt lgkmcnt(0)
	global_store_dword v[0:1], v2, off offset:800
.LBB0_19:
	s_endpgm
	.section	.rodata,"a",@progbits
	.p2align	6, 0x0
	.amdhsa_kernel fft_rtc_fwd_len200_factors_10_10_2_wgs_60_tpt_20_halfLds_half_op_CI_CI_unitstride_sbrr_R2C_dirReg
		.amdhsa_group_segment_fixed_size 0
		.amdhsa_private_segment_fixed_size 0
		.amdhsa_kernarg_size 104
		.amdhsa_user_sgpr_count 2
		.amdhsa_user_sgpr_dispatch_ptr 0
		.amdhsa_user_sgpr_queue_ptr 0
		.amdhsa_user_sgpr_kernarg_segment_ptr 1
		.amdhsa_user_sgpr_dispatch_id 0
		.amdhsa_user_sgpr_kernarg_preload_length 0
		.amdhsa_user_sgpr_kernarg_preload_offset 0
		.amdhsa_user_sgpr_private_segment_size 0
		.amdhsa_uses_dynamic_stack 0
		.amdhsa_enable_private_segment 0
		.amdhsa_system_sgpr_workgroup_id_x 1
		.amdhsa_system_sgpr_workgroup_id_y 0
		.amdhsa_system_sgpr_workgroup_id_z 0
		.amdhsa_system_sgpr_workgroup_info 0
		.amdhsa_system_vgpr_workitem_id 0
		.amdhsa_next_free_vgpr 54
		.amdhsa_next_free_sgpr 28
		.amdhsa_accum_offset 56
		.amdhsa_reserve_vcc 1
		.amdhsa_float_round_mode_32 0
		.amdhsa_float_round_mode_16_64 0
		.amdhsa_float_denorm_mode_32 3
		.amdhsa_float_denorm_mode_16_64 3
		.amdhsa_dx10_clamp 1
		.amdhsa_ieee_mode 1
		.amdhsa_fp16_overflow 0
		.amdhsa_tg_split 0
		.amdhsa_exception_fp_ieee_invalid_op 0
		.amdhsa_exception_fp_denorm_src 0
		.amdhsa_exception_fp_ieee_div_zero 0
		.amdhsa_exception_fp_ieee_overflow 0
		.amdhsa_exception_fp_ieee_underflow 0
		.amdhsa_exception_fp_ieee_inexact 0
		.amdhsa_exception_int_div_zero 0
	.end_amdhsa_kernel
	.text
.Lfunc_end0:
	.size	fft_rtc_fwd_len200_factors_10_10_2_wgs_60_tpt_20_halfLds_half_op_CI_CI_unitstride_sbrr_R2C_dirReg, .Lfunc_end0-fft_rtc_fwd_len200_factors_10_10_2_wgs_60_tpt_20_halfLds_half_op_CI_CI_unitstride_sbrr_R2C_dirReg
                                        ; -- End function
	.section	.AMDGPU.csdata,"",@progbits
; Kernel info:
; codeLenInByte = 6324
; NumSgprs: 34
; NumVgprs: 54
; NumAgprs: 0
; TotalNumVgprs: 54
; ScratchSize: 0
; MemoryBound: 0
; FloatMode: 240
; IeeeMode: 1
; LDSByteSize: 0 bytes/workgroup (compile time only)
; SGPRBlocks: 4
; VGPRBlocks: 6
; NumSGPRsForWavesPerEU: 34
; NumVGPRsForWavesPerEU: 54
; AccumOffset: 56
; Occupancy: 8
; WaveLimiterHint : 1
; COMPUTE_PGM_RSRC2:SCRATCH_EN: 0
; COMPUTE_PGM_RSRC2:USER_SGPR: 2
; COMPUTE_PGM_RSRC2:TRAP_HANDLER: 0
; COMPUTE_PGM_RSRC2:TGID_X_EN: 1
; COMPUTE_PGM_RSRC2:TGID_Y_EN: 0
; COMPUTE_PGM_RSRC2:TGID_Z_EN: 0
; COMPUTE_PGM_RSRC2:TIDIG_COMP_CNT: 0
; COMPUTE_PGM_RSRC3_GFX90A:ACCUM_OFFSET: 13
; COMPUTE_PGM_RSRC3_GFX90A:TG_SPLIT: 0
	.text
	.p2alignl 6, 3212836864
	.fill 256, 4, 3212836864
	.type	__hip_cuid_a4f4b9beb82725ea,@object ; @__hip_cuid_a4f4b9beb82725ea
	.section	.bss,"aw",@nobits
	.globl	__hip_cuid_a4f4b9beb82725ea
__hip_cuid_a4f4b9beb82725ea:
	.byte	0                               ; 0x0
	.size	__hip_cuid_a4f4b9beb82725ea, 1

	.ident	"AMD clang version 19.0.0git (https://github.com/RadeonOpenCompute/llvm-project roc-6.4.0 25133 c7fe45cf4b819c5991fe208aaa96edf142730f1d)"
	.section	".note.GNU-stack","",@progbits
	.addrsig
	.addrsig_sym __hip_cuid_a4f4b9beb82725ea
	.amdgpu_metadata
---
amdhsa.kernels:
  - .agpr_count:     0
    .args:
      - .actual_access:  read_only
        .address_space:  global
        .offset:         0
        .size:           8
        .value_kind:     global_buffer
      - .offset:         8
        .size:           8
        .value_kind:     by_value
      - .actual_access:  read_only
        .address_space:  global
        .offset:         16
        .size:           8
        .value_kind:     global_buffer
      - .actual_access:  read_only
        .address_space:  global
        .offset:         24
        .size:           8
        .value_kind:     global_buffer
      - .actual_access:  read_only
        .address_space:  global
        .offset:         32
        .size:           8
        .value_kind:     global_buffer
      - .offset:         40
        .size:           8
        .value_kind:     by_value
      - .actual_access:  read_only
        .address_space:  global
        .offset:         48
        .size:           8
        .value_kind:     global_buffer
      - .actual_access:  read_only
        .address_space:  global
        .offset:         56
        .size:           8
        .value_kind:     global_buffer
      - .offset:         64
        .size:           4
        .value_kind:     by_value
      - .actual_access:  read_only
        .address_space:  global
        .offset:         72
        .size:           8
        .value_kind:     global_buffer
      - .actual_access:  read_only
        .address_space:  global
        .offset:         80
        .size:           8
        .value_kind:     global_buffer
      - .actual_access:  read_only
        .address_space:  global
        .offset:         88
        .size:           8
        .value_kind:     global_buffer
      - .actual_access:  write_only
        .address_space:  global
        .offset:         96
        .size:           8
        .value_kind:     global_buffer
    .group_segment_fixed_size: 0
    .kernarg_segment_align: 8
    .kernarg_segment_size: 104
    .language:       OpenCL C
    .language_version:
      - 2
      - 0
    .max_flat_workgroup_size: 60
    .name:           fft_rtc_fwd_len200_factors_10_10_2_wgs_60_tpt_20_halfLds_half_op_CI_CI_unitstride_sbrr_R2C_dirReg
    .private_segment_fixed_size: 0
    .sgpr_count:     34
    .sgpr_spill_count: 0
    .symbol:         fft_rtc_fwd_len200_factors_10_10_2_wgs_60_tpt_20_halfLds_half_op_CI_CI_unitstride_sbrr_R2C_dirReg.kd
    .uniform_work_group_size: 1
    .uses_dynamic_stack: false
    .vgpr_count:     54
    .vgpr_spill_count: 0
    .wavefront_size: 64
amdhsa.target:   amdgcn-amd-amdhsa--gfx950
amdhsa.version:
  - 1
  - 2
...

	.end_amdgpu_metadata
